;; amdgpu-corpus repo=ROCm/rocFFT kind=compiled arch=gfx1030 opt=O3
	.text
	.amdgcn_target "amdgcn-amd-amdhsa--gfx1030"
	.amdhsa_code_object_version 6
	.protected	fft_rtc_fwd_len169_factors_13_13_wgs_156_tpt_13_dp_op_CI_CI_sbrc_erc_z_xy_aligned ; -- Begin function fft_rtc_fwd_len169_factors_13_13_wgs_156_tpt_13_dp_op_CI_CI_sbrc_erc_z_xy_aligned
	.globl	fft_rtc_fwd_len169_factors_13_13_wgs_156_tpt_13_dp_op_CI_CI_sbrc_erc_z_xy_aligned
	.p2align	8
	.type	fft_rtc_fwd_len169_factors_13_13_wgs_156_tpt_13_dp_op_CI_CI_sbrc_erc_z_xy_aligned,@function
fft_rtc_fwd_len169_factors_13_13_wgs_156_tpt_13_dp_op_CI_CI_sbrc_erc_z_xy_aligned: ; @fft_rtc_fwd_len169_factors_13_13_wgs_156_tpt_13_dp_op_CI_CI_sbrc_erc_z_xy_aligned
; %bb.0:
	s_load_dwordx8 s[8:15], s[4:5], 0x0
	v_mov_b32_e32 v12, 0x184
	v_mul_u32_u24_e32 v13, 0x184, v0
	v_add_nc_u16 v5, v0, 0x9c
	v_add_nc_u16 v4, v0, 0x138
	;; [unrolled: 1-line block ×4, first 2 shown]
	v_lshrrev_b32_e32 v54, 16, v13
	v_mul_u32_u24_sdwa v13, v5, v12 dst_sel:DWORD dst_unused:UNUSED_PAD src0_sel:WORD_0 src1_sel:DWORD
	v_mul_u32_u24_sdwa v14, v4, v12 dst_sel:DWORD dst_unused:UNUSED_PAD src0_sel:WORD_0 src1_sel:DWORD
	;; [unrolled: 1-line block ×4, first 2 shown]
	v_mov_b32_e32 v9, 0xc1f
	v_lshrrev_b32_e32 v55, 16, v13
	v_add_nc_u16 v3, v0, 0x30c
	v_add_nc_u16 v6, v0, 0x3a8
	v_lshrrev_b32_e32 v59, 16, v12
	v_lshrrev_b32_e32 v56, 16, v14
	v_mul_lo_u16 v23, 0xa9, v54
	v_mul_u32_u24_sdwa v17, v3, v9 dst_sel:DWORD dst_unused:UNUSED_PAD src0_sel:WORD_0 src1_sel:DWORD
	s_waitcnt lgkmcnt(0)
	s_load_dwordx4 s[16:19], s[12:13], 0x8
	s_clause 0x1
	s_load_dwordx2 s[12:13], s[4:5], 0x20
	s_load_dwordx4 s[0:3], s[4:5], 0x58
	v_add_nc_u16 v7, v0, 0x444
	v_add_nc_u16 v8, v0, 0x4e0
	v_mul_u32_u24_sdwa v18, v6, v9 dst_sel:DWORD dst_unused:UNUSED_PAD src0_sel:WORD_0 src1_sel:DWORD
	v_lshrrev_b32_e32 v57, 16, v15
	v_mul_lo_u16 v15, 0xa9, v56
	v_lshrrev_b32_e32 v58, 19, v17
	v_sub_nc_u16 v14, v0, v23
	v_mul_u32_u24_sdwa v19, v7, v9 dst_sel:DWORD dst_unused:UNUSED_PAD src0_sel:WORD_0 src1_sel:DWORD
	v_mul_u32_u24_sdwa v20, v8, v9 dst_sel:DWORD dst_unused:UNUSED_PAD src0_sel:WORD_0 src1_sel:DWORD
	v_lshrrev_b32_e32 v60, 19, v18
	v_sub_nc_u16 v4, v4, v15
	v_mul_lo_u16 v17, 0xa9, v59
	v_mul_lo_u16 v18, 0xa9, v58
	v_and_b32_e32 v65, 0xffff, v14
	v_lshrrev_b32_e32 v62, 19, v19
	v_lshrrev_b32_e32 v61, 19, v20
	v_mul_lo_u16 v19, 0xa9, v60
	v_and_b32_e32 v66, 0xffff, v4
	s_waitcnt lgkmcnt(0)
	s_add_i32 s4, s16, -1
	v_sub_nc_u16 v17, v2, v17
	s_mul_hi_u32 s4, s4, 0xaaaaaaab
	v_sub_nc_u16 v18, v3, v18
	s_lshr_b32 s4, s4, 3
	v_mov_b32_e32 v53, 0
	s_add_i32 s5, s4, 1
	v_mul_lo_u16 v20, 0xa9, v61
	s_mul_i32 s16, s5, s18
	v_cvt_f32_u32_e32 v13, s5
	v_cvt_f32_u32_e32 v16, s16
	s_sub_i32 s18, 0, s16
	v_sub_nc_u16 v19, v6, v19
	v_sub_nc_u16 v20, v8, v20
	v_rcp_iflag_f32_e32 v13, v13
	v_rcp_iflag_f32_e32 v16, v16
	v_add_nc_u16 v10, v0, 0x57c
	v_add_nc_u16 v11, v0, 0x618
	s_mov_b32 s7, 0
	v_and_b32_e32 v69, 0xffff, v17
	v_and_b32_e32 v70, 0xffff, v18
	v_mul_u32_u24_sdwa v21, v10, v9 dst_sel:DWORD dst_unused:UNUSED_PAD src0_sel:WORD_0 src1_sel:DWORD
	v_mul_u32_u24_sdwa v22, v11, v9 dst_sel:DWORD dst_unused:UNUSED_PAD src0_sel:WORD_0 src1_sel:DWORD
	v_and_b32_e32 v72, 0xffff, v19
	v_mul_f32_e32 v13, 0x4f7ffffe, v13
	v_mul_f32_e32 v12, 0x4f7ffffe, v16
	v_mul_lo_u16 v16, 0xa9, v57
	v_lshrrev_b32_e32 v63, 19, v21
	v_lshrrev_b32_e32 v64, 19, v22
	v_cvt_u32_f32_e32 v13, v13
	v_cvt_u32_f32_e32 v12, v12
	v_sub_nc_u16 v23, v1, v16
	v_mul_lo_u16 v21, 0xa9, v63
	v_mul_lo_u16 v22, 0xa9, v64
	v_readfirstlane_b32 s21, v13
	v_readfirstlane_b32 s17, v12
	v_mul_lo_u16 v12, 0xa9, v55
	v_mul_lo_u16 v13, 0xa9, v62
	v_sub_nc_u16 v21, v10, v21
	v_sub_nc_u16 v22, v11, v22
	s_mul_i32 s18, s18, s17
	v_sub_nc_u16 v5, v5, v12
	s_mul_hi_u32 s18, s17, s18
	v_sub_nc_u16 v24, v7, v13
	s_add_i32 s17, s17, s18
	v_and_b32_e32 v68, 0xffff, v23
	s_mul_hi_u32 s17, s6, s17
	v_and_b32_e32 v67, 0xffff, v5
	s_mul_i32 s18, s17, s16
	s_add_i32 s19, s17, 1
	s_sub_i32 s18, s6, s18
	v_and_b32_e32 v73, 0xffff, v24
	s_sub_i32 s20, s18, s16
	s_cmp_ge_u32 s18, s16
	v_and_b32_e32 v74, 0xffff, v20
	s_cselect_b32 s17, s19, s17
	s_cselect_b32 s18, s20, s18
	s_add_i32 s19, s17, 1
	s_cmp_ge_u32 s18, s16
	v_and_b32_e32 v75, 0xffff, v21
	s_cselect_b32 s33, s19, s17
	s_not_b32 s4, s4
	s_mul_i32 s16, s33, s16
	s_mul_i32 s4, s4, s21
	s_sub_i32 s16, s6, s16
	s_mul_hi_u32 s4, s21, s4
	v_and_b32_e32 v71, 0xffff, v22
	s_add_i32 s4, s21, s4
	s_load_dwordx4 s[20:23], s[14:15], 0x0
	s_mul_hi_u32 s17, s16, s4
	s_waitcnt lgkmcnt(0)
	s_load_dword s23, s[14:15], 0x10
	s_mul_i32 s18, s17, s5
	s_mul_hi_u32 s4, s6, s4
	s_sub_i32 s16, s16, s18
	s_add_i32 s18, s17, 1
	s_sub_i32 s19, s16, s5
	s_cmp_ge_u32 s16, s5
	v_add_nc_u16 v34, v0, 0x6b4
	s_cselect_b32 s24, s18, s17
	s_cselect_b32 s25, s19, s16
	s_load_dwordx4 s[16:19], s[12:13], 0x0
	s_waitcnt lgkmcnt(0)
	s_add_i32 s19, s24, 1
	s_cmp_ge_u32 s25, s5
	s_mul_i32 s25, s4, s5
	s_cselect_b32 s4, s19, s24
	s_sub_i32 s6, s6, s25
	s_load_dword s19, s[12:13], 0x10
	s_sub_i32 s24, s6, s5
	s_cmp_ge_u32 s6, s5
	v_mad_u64_u32 v[1:2], null, s20, v65, 0
	s_cselect_b32 s6, s24, s6
	v_mul_lo_u32 v52, s22, v54
	s_sub_i32 s24, s6, s5
	s_cmp_ge_u32 s6, s5
	s_mul_i32 s5, s4, s23
	s_cselect_b32 s52, s24, s6
	s_lshl_b64 s[10:11], s[10:11], 3
	s_mul_i32 s52, s52, 12
	v_mad_u64_u32 v[3:4], null, s20, v67, 0
	s_mul_i32 s6, s52, s22
	s_mul_i32 s23, s17, s52
	s_mul_hi_u32 s24, s16, s52
	s_add_i32 s6, s6, s5
	s_add_i32 s5, s24, s23
	s_add_u32 s14, s14, s10
	s_addc_u32 s15, s15, s11
	v_mad_u64_u32 v[5:6], null, s20, v66, 0
	s_load_dwordx2 s[14:15], s[14:15], 0x0
	v_lshlrev_b64 v[7:8], 4, v[52:53]
	v_mad_u64_u32 v[12:13], null, s21, v65, v[2:3]
	v_mul_lo_u32 v52, s22, v55
	v_mad_u64_u32 v[18:19], null, s20, v72, 0
	v_mad_u64_u32 v[13:14], null, s21, v67, v[4:5]
	;; [unrolled: 1-line block ×3, first 2 shown]
	v_mov_b32_e32 v2, v12
	v_lshlrev_b64 v[15:16], 4, v[52:53]
	v_mul_lo_u32 v52, s22, v56
	v_mad_u64_u32 v[20:21], null, s20, v73, 0
	v_mov_b32_e32 v4, v13
	v_lshlrev_b64 v[1:2], 4, v[1:2]
	v_mov_b32_e32 v6, v14
	v_mad_u64_u32 v[22:23], null, s20, v74, 0
	s_waitcnt lgkmcnt(0)
	s_mul_i32 s15, s15, s33
	s_mul_hi_u32 s23, s14, s33
	s_mul_i32 s14, s14, s33
	s_add_i32 s15, s23, s15
	s_add_u32 s10, s12, s10
	s_addc_u32 s11, s13, s11
	v_lshlrev_b64 v[3:4], 4, v[3:4]
	s_load_dwordx2 s[10:11], s[10:11], 0x0
	s_lshl_b64 s[12:13], s[14:15], 4
	v_lshlrev_b64 v[5:6], 4, v[5:6]
	v_lshlrev_b64 v[10:11], 4, v[52:53]
	v_mul_lo_u32 v52, s22, v57
	v_add_nc_u16 v36, v0, 0x750
	v_mul_u32_u24_sdwa v32, v34, v9 dst_sel:DWORD dst_unused:UNUSED_PAD src0_sel:WORD_0 src1_sel:DWORD
	v_mul_u32_u24_e32 v80, 0x13b2, v0
	v_mul_u32_u24_e32 v82, 0xaa0, v55
	;; [unrolled: 1-line block ×3, first 2 shown]
	v_mul_u32_u24_sdwa v9, v36, v9 dst_sel:DWORD dst_unused:UNUSED_PAD src0_sel:WORD_0 src1_sel:DWORD
	v_lshrrev_b32_e32 v77, 19, v32
	v_lshrrev_b32_e32 v80, 16, v80
	v_lshlrev_b32_e32 v65, 4, v65
	v_mul_u32_u24_e32 v56, 0xaa0, v56
	v_lshrrev_b32_e32 v79, 19, v9
	v_mul_lo_u16 v9, 0xa9, v77
	v_mul_lo_u16 v81, v80, 13
	v_add_nc_u32_e32 v80, s52, v80
	v_add3_u32 v65, 0, v54, v65
	s_waitcnt lgkmcnt(0)
	s_mul_i32 s11, s11, s33
	s_mul_hi_u32 s23, s10, s33
	v_sub_nc_u16 v9, v34, v9
	s_add_i32 s11, s23, s11
	s_add_u32 s12, s0, s12
	s_addc_u32 s13, s1, s13
	s_lshl_b64 s[0:1], s[6:7], 4
	v_and_b32_e32 v76, 0xffff, v9
	s_add_u32 s0, s12, s0
	s_addc_u32 s1, s13, s1
	v_add_co_u32 v1, vcc_lo, s0, v1
	v_add_co_ci_u32_e32 v2, vcc_lo, s1, v2, vcc_lo
	v_add_co_u32 v3, vcc_lo, s0, v3
	v_add_co_ci_u32_e32 v4, vcc_lo, s1, v4, vcc_lo
	;; [unrolled: 2-line block ×6, first 2 shown]
	v_mad_u64_u32 v[12:13], null, s20, v68, 0
	v_mad_u64_u32 v[14:15], null, s20, v69, 0
	;; [unrolled: 1-line block ×3, first 2 shown]
	s_clause 0x1
	global_load_dwordx4 v[1:4], v[1:2], off
	global_load_dwordx4 v[5:8], v[5:6], off
	v_sub_nc_u16 v55, v0, v81
	v_mul_hi_u32 v81, 0xaaaaaaab, v80
	v_lshlrev_b32_e32 v54, 4, v66
	v_mad_u64_u32 v[24:25], null, s21, v68, v[13:14]
	v_mad_u64_u32 v[25:26], null, s21, v69, v[15:16]
	;; [unrolled: 1-line block ×3, first 2 shown]
	v_mov_b32_e32 v17, v21
	v_mov_b32_e32 v21, v23
	;; [unrolled: 1-line block ×3, first 2 shown]
	v_mad_u64_u32 v[23:24], null, s21, v72, v[19:20]
	v_mov_b32_e32 v15, v25
	v_mad_u64_u32 v[24:25], null, s20, v71, 0
	v_mad_u64_u32 v[26:27], null, s20, v75, 0
	;; [unrolled: 1-line block ×3, first 2 shown]
	v_mov_b32_e32 v19, v23
	v_mov_b32_e32 v17, v28
	;; [unrolled: 1-line block ×3, first 2 shown]
	v_mad_u64_u32 v[30:31], null, s21, v74, v[21:22]
	v_mad_u64_u32 v[27:28], null, s21, v75, v[27:28]
	v_mov_b32_e32 v21, v29
	v_mad_u64_u32 v[28:29], null, s21, v71, v[23:24]
	v_lshlrev_b64 v[12:13], 4, v[12:13]
	v_mov_b32_e32 v23, v30
	v_lshrrev_b32_e32 v81, 3, v81
	v_and_b32_e32 v55, 0xffff, v55
	v_lshlrev_b32_e32 v67, 4, v67
	v_mul_u32_u24_e32 v57, 0xaa0, v57
	v_mov_b32_e32 v25, v28
	v_lshlrev_b64 v[28:29], 4, v[52:53]
	v_mul_lo_u32 v52, s22, v59
	v_add_co_u32 v30, vcc_lo, s0, v12
	v_add_co_ci_u32_e32 v31, vcc_lo, s1, v13, vcc_lo
	v_lshlrev_b64 v[12:13], 4, v[14:15]
	v_add_co_u32 v14, vcc_lo, v30, v28
	v_add_co_ci_u32_e32 v15, vcc_lo, v31, v29, vcc_lo
	v_lshlrev_b64 v[28:29], 4, v[52:53]
	v_mul_lo_u32 v52, s22, v58
	v_add_co_u32 v30, vcc_lo, s0, v12
	v_add_co_ci_u32_e32 v31, vcc_lo, s1, v13, vcc_lo
	v_lshlrev_b64 v[12:13], 4, v[16:17]
	v_add_co_u32 v28, vcc_lo, v30, v28
	v_add_co_ci_u32_e32 v29, vcc_lo, v31, v29, vcc_lo
	;; [unrolled: 7-line block ×4, first 2 shown]
	v_lshlrev_b64 v[16:17], 4, v[52:53]
	v_mul_lo_u32 v52, s22, v61
	v_add_co_u32 v18, vcc_lo, s0, v12
	v_mul_lo_u16 v20, 0xa9, v79
	v_add_co_ci_u32_e32 v19, vcc_lo, s1, v13, vcc_lo
	v_lshlrev_b64 v[12:13], 4, v[22:23]
	v_add_co_u32 v34, vcc_lo, v18, v16
	v_sub_nc_u16 v18, v36, v20
	v_add_co_ci_u32_e32 v35, vcc_lo, v19, v17, vcc_lo
	v_lshlrev_b64 v[16:17], 4, v[52:53]
	v_add_co_u32 v9, vcc_lo, s0, v12
	v_add_co_ci_u32_e32 v20, vcc_lo, s1, v13, vcc_lo
	v_and_b32_e32 v78, 0xffff, v18
	v_mad_u64_u32 v[18:19], null, s20, v76, 0
	v_add_co_u32 v36, vcc_lo, v9, v16
	v_mul_lo_u32 v52, s22, v63
	v_add_co_ci_u32_e32 v37, vcc_lo, v20, v17, vcc_lo
	v_mad_u64_u32 v[20:21], null, s20, v78, 0
	v_lshlrev_b64 v[12:13], 4, v[26:27]
	v_mov_b32_e32 v9, v19
	v_mul_lo_u32 v66, v81, 12
	v_lshlrev_b64 v[16:17], 4, v[52:53]
	v_mul_lo_u32 v52, s22, v64
	v_lshlrev_b32_e32 v83, 4, v55
	v_add_co_u32 v23, vcc_lo, s0, v12
	v_mov_b32_e32 v19, v21
	v_mad_u64_u32 v[21:22], null, s21, v76, v[9:10]
	v_add_co_ci_u32_e32 v26, vcc_lo, s1, v13, vcc_lo
	v_lshlrev_b64 v[12:13], 4, v[24:25]
	v_add_co_u32 v38, vcc_lo, v23, v16
	v_mad_u64_u32 v[22:23], null, s21, v78, v[19:20]
	v_add_co_ci_u32_e32 v39, vcc_lo, v26, v17, vcc_lo
	v_lshlrev_b64 v[16:17], 4, v[52:53]
	v_mul_lo_u32 v52, s22, v77
	v_mov_b32_e32 v19, v21
	v_add_co_u32 v9, vcc_lo, s0, v12
	v_add_co_ci_u32_e32 v23, vcc_lo, s1, v13, vcc_lo
	v_mov_b32_e32 v21, v22
	v_lshlrev_b64 v[18:19], 4, v[18:19]
	v_lshlrev_b64 v[12:13], 4, v[52:53]
	v_mul_lo_u32 v52, s22, v79
	v_add_co_u32 v41, vcc_lo, v9, v16
	v_add_co_ci_u32_e32 v42, vcc_lo, v23, v17, vcc_lo
	v_lshlrev_b64 v[16:17], 4, v[20:21]
	v_add_co_u32 v9, vcc_lo, s0, v18
	v_add_co_ci_u32_e32 v18, vcc_lo, s1, v19, vcc_lo
	v_lshlrev_b64 v[20:21], 4, v[52:53]
	v_add_co_u32 v16, vcc_lo, s0, v16
	v_add_co_ci_u32_e32 v17, vcc_lo, s1, v17, vcc_lo
	v_add_co_u32 v45, vcc_lo, v9, v12
	v_add_co_ci_u32_e32 v46, vcc_lo, v18, v13, vcc_lo
	;; [unrolled: 2-line block ×3, first 2 shown]
	s_clause 0xa
	global_load_dwordx4 v[9:12], v[10:11], off
	global_load_dwordx4 v[13:16], v[14:15], off
	;; [unrolled: 1-line block ×11, first 2 shown]
	v_sub_nc_u32_e32 v66, v80, v66
	v_add3_u32 v80, 0, v56, v54
	v_lshlrev_b32_e32 v68, 4, v68
	v_mul_u32_u24_e32 v59, 0xaa0, v59
	v_lshlrev_b32_e32 v69, 4, v69
	v_mul_u32_u24_e32 v66, 0xaa, v66
	v_mul_u32_u24_e32 v58, 0xaa0, v58
	;; [unrolled: 1-line block ×5, first 2 shown]
	v_lshlrev_b32_e32 v54, 4, v66
	v_mul_u32_u24_e32 v63, 0xaa0, v63
	v_mul_u32_u24_e32 v64, 0xaa0, v64
	v_mul_u32_u24_e32 v77, 0xaa0, v77
	v_mul_u32_u24_e32 v79, 0xaa0, v79
	v_add_nc_u32_e32 v56, 0, v54
	v_lshlrev_b32_e32 v70, 4, v70
	v_lshlrev_b32_e32 v72, 4, v72
	;; [unrolled: 1-line block ×8, first 2 shown]
	v_add3_u32 v110, 0, v83, v54
	v_add_nc_u32_e32 v54, v56, v83
	v_add3_u32 v67, 0, v82, v67
	v_add3_u32 v57, 0, v57, v68
	;; [unrolled: 1-line block ×11, first 2 shown]
	s_mov_b32 s44, 0x4267c47c
	s_mov_b32 s45, 0xbfddbe06
	;; [unrolled: 1-line block ×36, first 2 shown]
	v_mad_u32_u24 v56, 0xd0, v55, v56
	s_mul_i32 s6, s4, s18
	s_mul_i32 s4, s16, s52
	;; [unrolled: 1-line block ×3, first 2 shown]
	s_waitcnt vmcnt(12)
	ds_write_b128 v65, v[1:4]
	s_waitcnt vmcnt(11)
	ds_write_b128 v67, v[5:8]
	;; [unrolled: 2-line block ×13, first 2 shown]
	s_waitcnt lgkmcnt(0)
	s_barrier
	buffer_gl0_inv
	ds_read_b128 v[5:8], v54
	ds_read_b128 v[13:16], v110 offset:208
	ds_read_b128 v[1:4], v110 offset:2496
	ds_read_b128 v[9:12], v110 offset:2288
	ds_read_b128 v[17:20], v110 offset:416
	ds_read_b128 v[21:24], v110 offset:624
	ds_read_b128 v[25:28], v110 offset:2080
	ds_read_b128 v[29:32], v110 offset:1664
	ds_read_b128 v[33:36], v110 offset:1872
	ds_read_b128 v[37:40], v110 offset:832
	ds_read_b128 v[41:44], v110 offset:1040
	ds_read_b128 v[45:48], v110 offset:1248
	ds_read_b128 v[49:52], v110 offset:1456
	s_waitcnt lgkmcnt(0)
	s_barrier
	buffer_gl0_inv
	v_add_f64 v[59:60], v[7:8], v[15:16]
	v_add_f64 v[57:58], v[5:6], v[13:14]
	v_add_f64 v[65:66], v[19:20], -v[11:12]
	v_add_f64 v[75:76], v[19:20], v[11:12]
	v_add_f64 v[67:68], v[17:18], -v[9:10]
	;; [unrolled: 2-line block ×3, first 2 shown]
	v_add_f64 v[63:64], v[13:14], -v[1:2]
	v_add_f64 v[13:14], v[13:14], v[1:2]
	v_add_f64 v[15:16], v[15:16], v[3:4]
	v_add_f64 v[71:72], v[23:24], -v[27:28]
	v_add_f64 v[69:70], v[21:22], -v[25:26]
	;; [unrolled: 1-line block ×3, first 2 shown]
	v_add_f64 v[81:82], v[21:22], v[25:26]
	v_add_f64 v[87:88], v[41:42], v[29:30]
	v_add_f64 v[89:90], v[43:44], v[31:32]
	v_add_f64 v[91:92], v[41:42], -v[29:30]
	v_add_f64 v[93:94], v[43:44], -v[31:32]
	v_add_f64 v[95:96], v[45:46], v[49:50]
	v_add_f64 v[79:80], v[37:38], -v[33:34]
	v_add_f64 v[83:84], v[23:24], v[27:28]
	v_add_f64 v[85:86], v[37:38], v[33:34]
	v_add_f64 v[19:20], v[59:60], v[19:20]
	v_add_f64 v[17:18], v[57:58], v[17:18]
	v_mul_f64 v[105:106], v[65:66], s[34:35]
	v_add_f64 v[59:60], v[45:46], -v[49:50]
	v_mul_f64 v[139:140], v[65:66], s[12:13]
	v_mul_f64 v[141:142], v[67:68], s[12:13]
	;; [unrolled: 1-line block ×17, first 2 shown]
	v_add_f64 v[57:58], v[47:48], v[51:52]
	v_add_f64 v[19:20], v[19:20], v[23:24]
	;; [unrolled: 1-line block ×3, first 2 shown]
	v_add_f64 v[97:98], v[47:48], -v[51:52]
	v_mul_f64 v[115:116], v[77:78], s[12:13]
	v_mul_f64 v[21:22], v[63:64], s[30:31]
	;; [unrolled: 1-line block ×3, first 2 shown]
	v_fma_f64 v[197:198], v[13:14], s[0:1], -v[101:102]
	v_fma_f64 v[101:102], v[13:14], s[0:1], v[101:102]
	v_fma_f64 v[209:210], v[13:14], s[24:25], -v[119:120]
	v_fma_f64 v[119:120], v[13:14], s[24:25], v[119:120]
	;; [unrolled: 2-line block ×6, first 2 shown]
	v_fma_f64 v[61:62], v[15:16], s[24:25], -v[127:128]
	v_mul_f64 v[151:152], v[67:68], s[42:43]
	v_mul_f64 v[157:158], v[69:70], s[40:41]
	;; [unrolled: 1-line block ×3, first 2 shown]
	v_add_f64 v[19:20], v[19:20], v[39:40]
	v_add_f64 v[17:18], v[17:18], v[37:38]
	v_mul_f64 v[161:162], v[69:70], s[48:49]
	v_mul_f64 v[163:164], v[71:72], s[38:39]
	v_fma_f64 v[201:202], v[81:82], s[14:15], -v[111:112]
	v_fma_f64 v[229:230], v[73:74], s[22:23], -v[139:140]
	v_add_f64 v[197:198], v[5:6], v[197:198]
	v_fma_f64 v[231:232], v[75:76], s[22:23], v[141:142]
	v_fma_f64 v[139:140], v[73:74], s[22:23], v[139:140]
	v_fma_f64 v[141:142], v[75:76], s[22:23], -v[141:142]
	v_fma_f64 v[233:234], v[73:74], s[26:27], -v[145:146]
	v_fma_f64 v[235:236], v[75:76], s[26:27], v[147:148]
	v_fma_f64 v[145:146], v[73:74], s[26:27], v[145:146]
	v_add_f64 v[121:122], v[5:6], v[121:122]
	v_add_f64 v[213:214], v[5:6], v[213:214]
	v_mul_f64 v[165:166], v[69:70], s[38:39]
	v_mul_f64 v[113:114], v[69:70], s[36:37]
	v_fma_f64 v[199:200], v[75:76], s[24:25], v[107:108]
	v_add_f64 v[61:62], v[7:8], v[61:62]
	v_add_f64 v[99:100], v[39:40], v[35:36]
	v_mul_f64 v[23:24], v[63:64], s[40:41]
	v_mul_f64 v[63:64], v[93:94], s[30:31]
	v_add_f64 v[19:20], v[19:20], v[43:44]
	v_add_f64 v[17:18], v[17:18], v[41:42]
	v_fma_f64 v[41:42], v[15:16], s[0:1], v[103:104]
	v_fma_f64 v[43:44], v[73:74], s[24:25], -v[105:106]
	v_mul_f64 v[155:156], v[67:68], s[28:29]
	v_mul_f64 v[37:38], v[77:78], s[42:43]
	;; [unrolled: 1-line block ×6, first 2 shown]
	v_fma_f64 v[205:206], v[85:86], s[22:23], -v[115:116]
	v_fma_f64 v[223:224], v[15:16], s[20:21], v[21:22]
	v_fma_f64 v[241:242], v[81:82], s[26:27], -v[143:144]
	v_fma_f64 v[243:244], v[83:84], s[26:27], v[157:158]
	v_fma_f64 v[143:144], v[81:82], s[26:27], v[143:144]
	v_fma_f64 v[157:158], v[83:84], s[26:27], -v[157:158]
	v_fma_f64 v[245:246], v[81:82], s[22:23], -v[159:160]
	v_fma_f64 v[247:248], v[83:84], s[22:23], v[161:162]
	v_fma_f64 v[159:160], v[81:82], s[22:23], v[159:160]
	v_add_f64 v[209:210], v[5:6], v[209:210]
	v_fma_f64 v[249:250], v[81:82], s[0:1], -v[163:164]
	v_add_f64 v[61:62], v[141:142], v[61:62]
	v_add_f64 v[19:20], v[19:20], v[47:48]
	;; [unrolled: 1-line block ×3, first 2 shown]
	v_fma_f64 v[45:46], v[15:16], s[0:1], -v[103:104]
	v_fma_f64 v[103:104], v[15:16], s[14:15], v[129:130]
	v_fma_f64 v[47:48], v[15:16], s[24:25], v[127:128]
	v_fma_f64 v[127:128], v[15:16], s[14:15], -v[129:130]
	v_fma_f64 v[129:130], v[15:16], s[22:23], v[131:132]
	v_fma_f64 v[131:132], v[15:16], s[22:23], -v[131:132]
	v_add_f64 v[43:44], v[43:44], v[197:198]
	v_add_f64 v[41:42], v[7:8], v[41:42]
	;; [unrolled: 1-line block ×4, first 2 shown]
	v_mul_f64 v[117:118], v[79:80], s[12:13]
	v_fma_f64 v[203:204], v[83:84], s[14:15], v[113:114]
	v_mul_f64 v[135:136], v[97:98], s[40:41]
	v_mul_f64 v[175:176], v[79:80], s[36:37]
	;; [unrolled: 1-line block ×4, first 2 shown]
	v_fma_f64 v[217:218], v[87:88], s[20:21], -v[63:64]
	v_fma_f64 v[239:240], v[75:76], s[14:15], v[155:156]
	v_fma_f64 v[197:198], v[99:100], s[20:21], v[39:40]
	v_fma_f64 v[39:40], v[99:100], s[20:21], -v[39:40]
	v_add_f64 v[19:20], v[19:20], v[51:52]
	v_add_f64 v[17:18], v[17:18], v[49:50]
	v_fma_f64 v[51:52], v[73:74], s[20:21], -v[149:150]
	v_add_f64 v[103:104], v[7:8], v[103:104]
	v_fma_f64 v[49:50], v[75:76], s[26:27], -v[147:148]
	v_fma_f64 v[147:148], v[75:76], s[20:21], v[151:152]
	v_fma_f64 v[149:150], v[73:74], s[20:21], v[149:150]
	v_fma_f64 v[151:152], v[75:76], s[20:21], -v[151:152]
	v_add_f64 v[47:48], v[7:8], v[47:48]
	v_add_f64 v[43:44], v[201:202], v[43:44]
	;; [unrolled: 1-line block ×4, first 2 shown]
	v_fma_f64 v[199:200], v[85:86], s[0:1], -v[167:168]
	v_add_f64 v[127:128], v[7:8], v[127:128]
	v_add_f64 v[209:210], v[229:230], v[209:210]
	v_fma_f64 v[229:230], v[99:100], s[0:1], v[169:170]
	v_fma_f64 v[167:168], v[85:86], s[0:1], v[167:168]
	v_add_f64 v[61:62], v[157:158], v[61:62]
	v_add_f64 v[121:122], v[159:160], v[121:122]
	;; [unrolled: 1-line block ×3, first 2 shown]
	v_mul_f64 v[133:134], v[91:92], s[30:31]
	v_fma_f64 v[207:208], v[99:100], s[22:23], v[117:118]
	v_add_f64 v[19:20], v[19:20], v[31:32]
	v_add_f64 v[31:32], v[5:6], v[119:120]
	;; [unrolled: 1-line block ×4, first 2 shown]
	v_fma_f64 v[29:30], v[83:84], s[0:1], v[165:166]
	v_fma_f64 v[119:120], v[81:82], s[0:1], v[163:164]
	v_fma_f64 v[163:164], v[83:84], s[0:1], -v[165:166]
	v_add_f64 v[165:166], v[5:6], v[211:212]
	v_fma_f64 v[211:212], v[85:86], s[20:21], -v[37:38]
	v_fma_f64 v[37:38], v[85:86], s[20:21], v[37:38]
	v_add_f64 v[47:48], v[231:232], v[47:48]
	v_fma_f64 v[231:232], v[85:86], s[14:15], -v[173:174]
	v_add_f64 v[43:44], v[205:206], v[43:44]
	v_add_f64 v[131:132], v[151:152], v[131:132]
	;; [unrolled: 1-line block ×3, first 2 shown]
	v_mul_f64 v[153:154], v[65:66], s[28:29]
	v_mul_f64 v[65:66], v[65:66], s[38:39]
	v_mul_f64 v[67:68], v[67:68], s[38:39]
	v_fma_f64 v[21:22], v[15:16], s[20:21], -v[21:22]
	v_fma_f64 v[225:226], v[15:16], s[26:27], v[23:24]
	v_fma_f64 v[15:16], v[15:16], s[26:27], -v[23:24]
	v_fma_f64 v[23:24], v[95:96], s[26:27], -v[135:136]
	v_add_f64 v[19:20], v[19:20], v[35:36]
	v_add_f64 v[31:32], v[139:140], v[31:32]
	v_add_f64 v[35:36], v[51:52], v[213:214]
	v_add_f64 v[17:18], v[17:18], v[33:34]
	v_add_f64 v[103:104], v[247:248], v[103:104]
	v_fma_f64 v[139:140], v[99:100], s[14:15], v[175:176]
	v_add_f64 v[49:50], v[49:50], v[127:128]
	v_add_f64 v[165:166], v[233:234], v[165:166]
	v_fma_f64 v[33:34], v[87:88], s[26:27], -v[183:184]
	v_fma_f64 v[51:52], v[85:86], s[14:15], v[173:174]
	v_fma_f64 v[127:128], v[99:100], s[14:15], -v[175:176]
	v_fma_f64 v[175:176], v[83:84], s[24:25], v[187:188]
	v_add_f64 v[43:44], v[217:218], v[43:44]
	v_mul_f64 v[171:172], v[93:94], s[28:29]
	v_mul_f64 v[177:178], v[91:92], s[28:29]
	;; [unrolled: 1-line block ×4, first 2 shown]
	v_add_f64 v[129:130], v[147:148], v[129:130]
	v_add_f64 v[147:148], v[241:242], v[209:210]
	v_mul_f64 v[137:138], v[59:60], s[40:41]
	v_fma_f64 v[221:222], v[89:90], s[20:21], v[133:134]
	v_add_f64 v[41:42], v[207:208], v[41:42]
	v_add_f64 v[19:20], v[19:20], v[27:28]
	;; [unrolled: 1-line block ×9, first 2 shown]
	v_mul_f64 v[185:186], v[71:72], s[34:35]
	v_fma_f64 v[237:238], v[73:74], s[14:15], -v[153:154]
	v_add_f64 v[25:26], v[5:6], v[101:102]
	v_add_f64 v[101:102], v[5:6], v[215:216]
	;; [unrolled: 1-line block ×4, first 2 shown]
	v_mul_f64 v[71:72], v[71:72], s[30:31]
	v_mul_f64 v[69:70], v[69:70], s[30:31]
	v_add_f64 v[15:16], v[7:8], v[15:16]
	v_fma_f64 v[141:142], v[87:88], s[14:15], -v[171:172]
	v_fma_f64 v[233:234], v[89:90], s[14:15], v[177:178]
	v_fma_f64 v[177:178], v[89:90], s[14:15], -v[177:178]
	v_fma_f64 v[235:236], v[87:88], s[24:25], -v[179:180]
	v_fma_f64 v[145:146], v[89:90], s[24:25], v[181:182]
	v_add_f64 v[11:12], v[19:20], v[11:12]
	v_add_f64 v[31:32], v[37:38], v[31:32]
	;; [unrolled: 1-line block ×13, first 2 shown]
	v_fma_f64 v[153:154], v[73:74], s[14:15], v[153:154]
	v_add_f64 v[21:22], v[7:8], v[21:22]
	v_add_f64 v[29:30], v[29:30], v[129:130]
	;; [unrolled: 1-line block ×4, first 2 shown]
	v_fma_f64 v[227:228], v[57:58], s[26:27], v[137:138]
	v_add_f64 v[41:42], v[221:222], v[41:42]
	v_fma_f64 v[173:174], v[81:82], s[24:25], -v[185:186]
	v_add_f64 v[101:102], v[237:238], v[101:102]
	v_mul_f64 v[131:132], v[77:78], s[46:47]
	v_mul_f64 v[77:78], v[77:78], s[50:51]
	v_fma_f64 v[161:162], v[83:84], s[22:23], -v[161:162]
	v_fma_f64 v[143:144], v[81:82], s[24:25], v[185:186]
	v_add_f64 v[47:48], v[243:244], v[47:48]
	v_add_f64 v[23:24], v[33:34], v[19:20]
	;; [unrolled: 1-line block ×4, first 2 shown]
	v_fma_f64 v[51:52], v[73:74], s[0:1], -v[65:66]
	v_add_f64 v[119:120], v[175:176], v[121:122]
	v_fma_f64 v[121:122], v[75:76], s[0:1], v[67:68]
	v_fma_f64 v[65:66], v[73:74], s[0:1], v[65:66]
	v_fma_f64 v[67:68], v[75:76], s[0:1], -v[67:68]
	v_fma_f64 v[33:34], v[75:76], s[14:15], -v[155:156]
	v_fma_f64 v[73:74], v[73:74], s[24:25], v[105:106]
	v_fma_f64 v[75:76], v[75:76], s[24:25], -v[107:108]
	v_mul_f64 v[107:108], v[79:80], s[46:47]
	v_mul_f64 v[79:80], v[79:80], s[50:51]
	v_add_f64 v[123:124], v[141:142], v[129:130]
	v_add_f64 v[129:130], v[177:178], v[37:38]
	;; [unrolled: 1-line block ×5, first 2 shown]
	v_fma_f64 v[145:146], v[83:84], s[24:25], -v[187:188]
	v_add_f64 v[7:8], v[227:228], v[41:42]
	v_mul_f64 v[41:42], v[91:92], s[46:47]
	v_add_f64 v[101:102], v[173:174], v[101:102]
	v_mul_f64 v[147:148], v[91:92], s[38:39]
	v_mul_f64 v[91:92], v[91:92], s[12:13]
	v_fma_f64 v[169:170], v[99:100], s[0:1], -v[169:170]
	v_add_f64 v[17:18], v[51:52], v[17:18]
	v_add_f64 v[49:50], v[161:162], v[49:50]
	;; [unrolled: 1-line block ×3, first 2 shown]
	v_fma_f64 v[121:122], v[81:82], s[20:21], -v[71:72]
	v_add_f64 v[13:14], v[65:66], v[13:14]
	v_fma_f64 v[65:66], v[83:84], s[20:21], v[69:70]
	v_add_f64 v[15:16], v[67:68], v[15:16]
	v_fma_f64 v[71:72], v[81:82], s[20:21], v[71:72]
	v_fma_f64 v[69:70], v[83:84], s[20:21], -v[69:70]
	v_add_f64 v[21:22], v[33:34], v[21:22]
	v_add_f64 v[25:26], v[73:74], v[25:26]
	;; [unrolled: 1-line block ×3, first 2 shown]
	v_fma_f64 v[81:82], v[81:82], s[14:15], v[111:112]
	v_fma_f64 v[83:84], v[83:84], s[14:15], -v[113:114]
	v_fma_f64 v[67:68], v[85:86], s[26:27], -v[131:132]
	v_fma_f64 v[73:74], v[99:100], s[26:27], v[107:108]
	v_mul_f64 v[75:76], v[93:94], s[38:39]
	v_mul_f64 v[93:94], v[93:94], s[12:13]
	v_add_f64 v[125:126], v[143:144], v[125:126]
	v_fma_f64 v[131:132], v[85:86], s[26:27], v[131:132]
	v_fma_f64 v[107:108], v[99:100], s[26:27], -v[107:108]
	v_mul_f64 v[189:190], v[97:98], s[38:39]
	v_mul_f64 v[191:192], v[59:60], s[38:39]
	v_add_f64 v[47:48], v[197:198], v[47:48]
	v_mul_f64 v[193:194], v[97:98], s[30:31]
	v_add_f64 v[17:18], v[121:122], v[17:18]
	v_fma_f64 v[121:122], v[99:100], s[24:25], v[79:80]
	v_add_f64 v[27:28], v[65:66], v[27:28]
	v_fma_f64 v[65:66], v[85:86], s[24:25], -v[77:78]
	v_add_f64 v[13:14], v[71:72], v[13:14]
	v_add_f64 v[15:16], v[69:70], v[15:16]
	v_fma_f64 v[69:70], v[85:86], s[24:25], v[77:78]
	v_fma_f64 v[71:72], v[99:100], s[24:25], -v[79:80]
	v_add_f64 v[21:22], v[145:146], v[21:22]
	v_add_f64 v[25:26], v[81:82], v[25:26]
	;; [unrolled: 1-line block ×3, first 2 shown]
	v_fma_f64 v[79:80], v[85:86], s[22:23], v[115:116]
	v_fma_f64 v[81:82], v[99:100], s[22:23], -v[117:118]
	v_mul_f64 v[195:196], v[59:60], s[30:31]
	v_add_f64 v[29:30], v[139:140], v[29:30]
	v_fma_f64 v[33:34], v[89:90], s[26:27], v[41:42]
	v_mul_f64 v[51:52], v[97:98], s[50:51]
	v_mul_f64 v[111:112], v[59:60], s[50:51]
	v_fma_f64 v[41:42], v[89:90], s[26:27], -v[41:42]
	v_add_f64 v[67:68], v[67:68], v[101:102]
	v_add_f64 v[73:74], v[73:74], v[119:120]
	v_fma_f64 v[77:78], v[87:88], s[0:1], -v[75:76]
	v_fma_f64 v[83:84], v[89:90], s[0:1], v[147:148]
	v_mul_f64 v[85:86], v[97:98], s[12:13]
	v_mul_f64 v[99:100], v[59:60], s[12:13]
	v_add_f64 v[17:18], v[65:66], v[17:18]
	v_add_f64 v[27:28], v[121:122], v[27:28]
	v_fma_f64 v[65:66], v[87:88], s[22:23], -v[93:94]
	v_fma_f64 v[115:116], v[89:90], s[22:23], v[91:92]
	v_mul_f64 v[97:98], v[97:98], s[28:29]
	v_mul_f64 v[59:60], v[59:60], s[28:29]
	v_fma_f64 v[171:172], v[87:88], s[14:15], v[171:172]
	v_fma_f64 v[113:114], v[87:88], s[26:27], v[183:184]
	v_add_f64 v[13:14], v[69:70], v[13:14]
	v_add_f64 v[15:16], v[71:72], v[15:16]
	v_fma_f64 v[69:70], v[87:88], s[22:23], v[93:94]
	v_fma_f64 v[71:72], v[89:90], s[22:23], -v[91:92]
	v_fma_f64 v[179:180], v[87:88], s[24:25], v[179:180]
	v_fma_f64 v[181:182], v[89:90], s[24:25], -v[181:182]
	v_add_f64 v[49:50], v[169:170], v[49:50]
	v_add_f64 v[101:102], v[131:132], v[125:126]
	;; [unrolled: 1-line block ×3, first 2 shown]
	v_fma_f64 v[75:76], v[87:88], s[0:1], v[75:76]
	v_fma_f64 v[107:108], v[89:90], s[0:1], -v[147:148]
	v_add_f64 v[25:26], v[79:80], v[25:26]
	v_add_f64 v[35:36], v[81:82], v[35:36]
	v_fma_f64 v[63:64], v[87:88], s[20:21], v[63:64]
	v_fma_f64 v[79:80], v[89:90], s[20:21], -v[133:134]
	v_add_f64 v[47:48], v[233:234], v[47:48]
	v_add_f64 v[1:2], v[9:10], v[1:2]
	;; [unrolled: 1-line block ×3, first 2 shown]
	v_fma_f64 v[9:10], v[95:96], s[0:1], -v[189:190]
	v_fma_f64 v[11:12], v[57:58], s[0:1], v[191:192]
	v_fma_f64 v[127:128], v[95:96], s[20:21], -v[193:194]
	v_fma_f64 v[105:106], v[57:58], s[20:21], v[195:196]
	v_add_f64 v[29:30], v[33:34], v[29:30]
	v_fma_f64 v[33:34], v[95:96], s[24:25], -v[51:52]
	v_fma_f64 v[91:92], v[57:58], s[24:25], v[111:112]
	v_add_f64 v[87:88], v[41:42], v[45:46]
	v_fma_f64 v[41:42], v[95:96], s[24:25], v[51:52]
	v_add_f64 v[45:46], v[77:78], v[67:68]
	v_add_f64 v[51:52], v[83:84], v[73:74]
	v_fma_f64 v[67:68], v[95:96], s[22:23], -v[85:86]
	v_fma_f64 v[73:74], v[57:58], s[22:23], v[99:100]
	v_add_f64 v[65:66], v[65:66], v[17:18]
	v_add_f64 v[83:84], v[115:116], v[27:28]
	v_fma_f64 v[89:90], v[95:96], s[14:15], -v[97:98]
	v_fma_f64 v[93:94], v[57:58], s[14:15], v[59:60]
	v_add_f64 v[31:32], v[171:172], v[31:32]
	v_fma_f64 v[43:44], v[95:96], s[0:1], v[189:190]
	v_add_f64 v[81:82], v[113:114], v[19:20]
	v_add_f64 v[69:70], v[69:70], v[13:14]
	;; [unrolled: 1-line block ×3, first 2 shown]
	v_fma_f64 v[71:72], v[95:96], s[14:15], v[97:98]
	v_fma_f64 v[59:60], v[57:58], s[14:15], -v[59:60]
	v_add_f64 v[61:62], v[179:180], v[103:104]
	v_add_f64 v[49:50], v[181:182], v[49:50]
	v_fma_f64 v[103:104], v[57:58], s[0:1], -v[191:192]
	v_fma_f64 v[139:140], v[95:96], s[20:21], v[193:194]
	v_fma_f64 v[141:142], v[57:58], s[20:21], -v[195:196]
	v_add_f64 v[75:76], v[75:76], v[101:102]
	v_add_f64 v[77:78], v[107:108], v[21:22]
	v_fma_f64 v[85:86], v[95:96], s[22:23], v[85:86]
	v_fma_f64 v[97:98], v[57:58], s[22:23], -v[99:100]
	v_fma_f64 v[99:100], v[57:58], s[24:25], -v[111:112]
	v_add_f64 v[63:64], v[63:64], v[25:26]
	v_add_f64 v[79:80], v[79:80], v[35:36]
	v_fma_f64 v[95:96], v[95:96], s[26:27], v[135:136]
	v_fma_f64 v[57:58], v[57:58], s[26:27], -v[137:138]
	v_add_f64 v[9:10], v[9:10], v[123:124]
	v_add_f64 v[11:12], v[11:12], v[47:48]
	v_add_f64 v[17:18], v[127:128], v[37:38]
	v_add_f64 v[19:20], v[105:106], v[39:40]
	v_add_f64 v[25:26], v[33:34], v[23:24]
	v_add_f64 v[27:28], v[91:92], v[29:30]
	v_add_f64 v[33:34], v[67:68], v[45:46]
	v_add_f64 v[35:36], v[73:74], v[51:52]
	v_add_f64 v[37:38], v[89:90], v[65:66]
	v_add_f64 v[39:40], v[93:94], v[83:84]
	v_add_f64 v[13:14], v[43:44], v[31:32]
	v_add_f64 v[29:30], v[41:42], v[81:82]
	v_add_f64 v[41:42], v[71:72], v[69:70]
	v_add_f64 v[43:44], v[59:60], v[15:16]
	v_add_f64 v[23:24], v[141:142], v[49:50]
	v_add_f64 v[45:46], v[85:86], v[75:76]
	v_add_f64 v[47:48], v[97:98], v[77:78]
	v_add_f64 v[31:32], v[99:100], v[87:88]
	v_add_f64 v[21:22], v[139:140], v[61:62]
	v_add_f64 v[15:16], v[103:104], v[129:130]
	v_add_f64 v[49:50], v[95:96], v[63:64]
	v_add_f64 v[51:52], v[57:58], v[79:80]
	ds_write_b128 v56, v[1:4]
	ds_write_b128 v56, v[5:8] offset:16
	ds_write_b128 v56, v[9:12] offset:32
	;; [unrolled: 1-line block ×7, first 2 shown]
	v_mul_u32_u24_e32 v1, 12, v55
	ds_write_b128 v56, v[45:48] offset:128
	ds_write_b128 v56, v[29:32] offset:144
	;; [unrolled: 1-line block ×4, first 2 shown]
	v_lshlrev_b32_e32 v1, 4, v1
	ds_write_b128 v56, v[49:52] offset:192
	s_waitcnt lgkmcnt(0)
	s_barrier
	buffer_gl0_inv
	s_clause 0xb
	global_load_dwordx4 v[7:10], v1, s[8:9]
	global_load_dwordx4 v[11:14], v1, s[8:9] offset:176
	global_load_dwordx4 v[15:18], v1, s[8:9] offset:16
	;; [unrolled: 1-line block ×11, first 2 shown]
	ds_read_b128 v[45:48], v110 offset:208
	ds_read_b128 v[63:66], v110 offset:2496
	;; [unrolled: 1-line block ×12, first 2 shown]
	ds_read_b128 v[1:4], v54
	s_waitcnt vmcnt(0) lgkmcnt(0)
	s_barrier
	buffer_gl0_inv
	v_mul_f64 v[5:6], v[45:46], v[9:10]
	v_mul_f64 v[39:40], v[63:64], v[13:14]
	;; [unrolled: 1-line block ×22, first 2 shown]
	v_fma_f64 v[135:136], v[47:48], v[7:8], v[5:6]
	v_fma_f64 v[5:6], v[65:66], v[11:12], v[39:40]
	v_fma_f64 v[65:66], v[45:46], v[7:8], -v[9:10]
	v_fma_f64 v[7:8], v[63:64], v[11:12], -v[13:14]
	v_mul_f64 v[61:62], v[113:114], v[61:62]
	v_fma_f64 v[84:85], v[67:68], v[15:16], -v[79:80]
	v_fma_f64 v[82:83], v[69:70], v[15:16], v[17:18]
	v_fma_f64 v[9:10], v[73:74], v[19:20], v[21:22]
	v_fma_f64 v[11:12], v[71:72], v[19:20], -v[115:116]
	v_fma_f64 v[15:16], v[90:91], v[31:32], -v[33:34]
	v_fma_f64 v[33:34], v[94:95], v[35:36], -v[123:124]
	v_fma_f64 v[17:18], v[100:101], v[41:42], v[127:128]
	v_fma_f64 v[19:20], v[98:99], v[41:42], -v[43:44]
	v_fma_f64 v[13:14], v[92:93], v[31:32], v[121:122]
	v_fma_f64 v[47:48], v[75:76], v[23:24], -v[117:118]
	;; [unrolled: 2-line block ×4, first 2 shown]
	v_fma_f64 v[27:28], v[106:107], v[55:56], -v[131:132]
	v_fma_f64 v[21:22], v[113:114], v[59:60], v[133:134]
	v_fma_f64 v[29:30], v[108:109], v[55:56], v[57:58]
	v_add_f64 v[92:93], v[3:4], v[135:136]
	v_add_f64 v[98:99], v[135:136], -v[5:6]
	v_add_f64 v[94:95], v[1:2], v[65:66]
	v_add_f64 v[100:101], v[65:66], -v[7:8]
	v_fma_f64 v[23:24], v[111:112], v[59:60], -v[61:62]
	v_add_f64 v[62:63], v[65:66], v[7:8]
	v_add_f64 v[58:59], v[135:136], v[5:6]
	v_add_f64 v[88:89], v[82:83], -v[9:10]
	v_add_f64 v[86:87], v[84:85], -v[11:12]
	v_add_f64 v[56:57], v[84:85], v[11:12]
	v_add_f64 v[54:55], v[82:83], v[9:10]
	v_fma_f64 v[31:32], v[96:97], v[35:36], v[125:126]
	v_mul_f64 v[51:52], v[102:103], v[51:52]
	v_add_f64 v[68:69], v[47:48], v[15:16]
	v_add_f64 v[96:97], v[45:46], -v[13:14]
	v_add_f64 v[90:91], v[47:48], -v[15:16]
	v_add_f64 v[60:61], v[45:46], v[13:14]
	v_add_f64 v[64:65], v[37:38], -v[17:18]
	v_add_f64 v[41:42], v[39:40], v[19:20]
	;; [unrolled: 2-line block ×3, first 2 shown]
	v_add_f64 v[82:83], v[92:93], v[82:83]
	v_mul_f64 v[111:112], v[98:99], s[44:45]
	v_mul_f64 v[115:116], v[98:99], s[34:35]
	;; [unrolled: 1-line block ×3, first 2 shown]
	v_add_f64 v[84:85], v[94:95], v[84:85]
	v_mul_f64 v[123:124], v[98:99], s[12:13]
	v_mul_f64 v[133:134], v[100:101], s[12:13]
	;; [unrolled: 1-line block ×17, first 2 shown]
	v_add_f64 v[45:46], v[82:83], v[45:46]
	v_fma_f64 v[197:198], v[62:63], s[0:1], -v[111:112]
	v_fma_f64 v[111:112], v[62:63], s[0:1], v[111:112]
	v_fma_f64 v[201:202], v[62:63], s[24:25], -v[115:116]
	v_fma_f64 v[115:116], v[62:63], s[24:25], v[115:116]
	v_fma_f64 v[213:214], v[58:59], s[24:25], v[129:130]
	v_add_f64 v[47:48], v[84:85], v[47:48]
	v_mul_f64 v[139:140], v[96:97], s[36:37]
	v_mul_f64 v[149:150], v[86:87], s[40:41]
	;; [unrolled: 1-line block ×11, first 2 shown]
	v_fma_f64 v[205:206], v[56:57], s[24:25], -v[119:120]
	v_fma_f64 v[209:210], v[62:63], s[22:23], -v[123:124]
	v_fma_f64 v[217:218], v[58:59], s[22:23], v[133:134]
	v_fma_f64 v[119:120], v[56:57], s[24:25], v[119:120]
	v_fma_f64 v[225:226], v[56:57], s[22:23], -v[143:144]
	v_fma_f64 v[143:144], v[56:57], s[22:23], v[143:144]
	v_fma_f64 v[227:228], v[56:57], s[26:27], -v[145:146]
	;; [unrolled: 2-line block ×5, first 2 shown]
	v_fma_f64 v[56:57], v[56:57], s[0:1], v[88:89]
	v_fma_f64 v[88:89], v[54:55], s[22:23], v[147:148]
	v_add_f64 v[111:112], v[1:2], v[111:112]
	v_add_f64 v[201:202], v[1:2], v[201:202]
	;; [unrolled: 1-line block ×5, first 2 shown]
	v_fma_f64 v[203:204], v[62:63], s[14:15], -v[117:118]
	v_fma_f64 v[117:118], v[62:63], s[14:15], v[117:118]
	v_fma_f64 v[123:124], v[62:63], s[22:23], v[123:124]
	v_fma_f64 v[211:212], v[62:63], s[20:21], -v[125:126]
	v_fma_f64 v[125:126], v[62:63], s[20:21], v[125:126]
	v_fma_f64 v[215:216], v[62:63], s[26:27], -v[127:128]
	v_fma_f64 v[62:63], v[62:63], s[26:27], v[127:128]
	v_fma_f64 v[127:128], v[58:59], s[14:15], v[131:132]
	v_fma_f64 v[131:132], v[58:59], s[14:15], -v[131:132]
	v_add_f64 v[37:38], v[45:46], v[37:38]
	v_fma_f64 v[199:200], v[58:59], s[0:1], v[113:114]
	v_fma_f64 v[113:114], v[58:59], s[0:1], -v[113:114]
	v_fma_f64 v[129:130], v[58:59], s[24:25], -v[129:130]
	v_fma_f64 v[35:36], v[104:105], v[49:50], v[51:52]
	v_add_f64 v[49:50], v[31:32], -v[21:22]
	v_add_f64 v[51:52], v[33:34], -v[23:24]
	v_add_f64 v[72:73], v[33:34], v[23:24]
	v_mul_f64 v[106:107], v[64:65], s[12:13]
	v_mul_f64 v[171:172], v[64:65], s[42:43]
	v_mul_f64 v[173:174], v[66:67], s[42:43]
	v_fma_f64 v[207:208], v[54:55], s[24:25], v[121:122]
	v_fma_f64 v[133:134], v[58:59], s[22:23], -v[133:134]
	v_fma_f64 v[219:220], v[58:59], s[20:21], v[135:136]
	v_fma_f64 v[135:136], v[58:59], s[20:21], -v[135:136]
	;; [unrolled: 2-line block ×3, first 2 shown]
	v_fma_f64 v[137:138], v[68:69], s[14:15], -v[139:140]
	v_fma_f64 v[121:122], v[54:55], s[24:25], -v[121:122]
	v_fma_f64 v[139:140], v[68:69], s[14:15], v[139:140]
	v_fma_f64 v[147:148], v[54:55], s[22:23], -v[147:148]
	v_fma_f64 v[231:232], v[54:55], s[26:27], v[149:150]
	;; [unrolled: 2-line block ×5, first 2 shown]
	v_fma_f64 v[54:55], v[54:55], s[0:1], -v[86:87]
	v_fma_f64 v[86:87], v[68:69], s[26:27], -v[155:156]
	v_fma_f64 v[155:156], v[68:69], s[26:27], v[155:156]
	v_fma_f64 v[239:240], v[68:69], s[22:23], -v[157:158]
	v_fma_f64 v[157:158], v[68:69], s[22:23], v[157:158]
	;; [unrolled: 2-line block ×5, first 2 shown]
	v_fma_f64 v[96:97], v[60:61], s[26:27], v[163:164]
	v_add_f64 v[197:198], v[1:2], v[197:198]
	v_add_f64 v[209:210], v[1:2], v[209:210]
	v_add_f64 v[217:218], v[3:4], v[217:218]
	v_add_f64 v[111:112], v[119:120], v[111:112]
	v_add_f64 v[201:202], v[225:226], v[201:202]
	v_add_f64 v[88:89], v[88:89], v[213:214]
	v_add_f64 v[115:116], v[143:144], v[115:116]
	v_add_f64 v[33:34], v[39:40], v[33:34]
	v_add_f64 v[76:77], v[31:32], v[21:22]
	v_mul_f64 v[165:166], v[90:91], s[48:49]
	v_mul_f64 v[167:168], v[90:91], s[38:39]
	v_add_f64 v[131:132], v[3:4], v[131:132]
	v_add_f64 v[31:32], v[37:38], v[31:32]
	v_mul_f64 v[141:142], v[90:91], s[36:37]
	v_add_f64 v[113:114], v[3:4], v[113:114]
	v_add_f64 v[129:130], v[3:4], v[129:130]
	;; [unrolled: 1-line block ×3, first 2 shown]
	v_add_f64 v[80:81], v[25:26], -v[27:28]
	v_add_f64 v[74:75], v[25:26], v[27:28]
	v_mul_f64 v[179:180], v[49:50], s[28:29]
	v_mul_f64 v[181:182], v[51:52], s[28:29]
	v_fma_f64 v[143:144], v[41:42], s[22:23], -v[106:107]
	v_add_f64 v[197:198], v[205:206], v[197:198]
	v_fma_f64 v[106:107], v[41:42], s[22:23], v[106:107]
	v_add_f64 v[84:85], v[84:85], v[209:210]
	v_fma_f64 v[209:210], v[41:42], s[20:21], -v[171:172]
	v_add_f64 v[217:218], v[233:234], v[217:218]
	v_fma_f64 v[233:234], v[43:44], s[20:21], v[173:174]
	v_fma_f64 v[171:172], v[41:42], s[20:21], v[171:172]
	v_add_f64 v[111:112], v[139:140], v[111:112]
	v_add_f64 v[86:87], v[86:87], v[201:202]
	v_add_f64 v[88:89], v[96:97], v[88:89]
	v_add_f64 v[115:116], v[155:156], v[115:116]
	v_add_f64 v[25:26], v[33:34], v[25:26]
	v_mul_f64 v[185:186], v[66:67], s[36:37]
	v_fma_f64 v[247:248], v[60:61], s[22:23], v[165:166]
	v_fma_f64 v[165:166], v[60:61], s[22:23], -v[165:166]
	v_fma_f64 v[249:250], v[60:61], s[0:1], v[167:168]
	v_add_f64 v[117:118], v[1:2], v[117:118]
	v_add_f64 v[123:124], v[1:2], v[123:124]
	;; [unrolled: 1-line block ×8, first 2 shown]
	v_add_f64 v[78:79], v[35:36], -v[29:30]
	v_mul_f64 v[108:109], v[66:67], s[12:13]
	v_mul_f64 v[100:101], v[49:50], s[30:31]
	v_fma_f64 v[223:224], v[60:61], s[14:15], v[141:142]
	v_fma_f64 v[141:142], v[60:61], s[14:15], -v[141:142]
	v_fma_f64 v[163:164], v[60:61], s[26:27], -v[163:164]
	v_add_f64 v[199:200], v[3:4], v[199:200]
	v_add_f64 v[133:134], v[3:4], v[133:134]
	;; [unrolled: 1-line block ×4, first 2 shown]
	v_mul_f64 v[175:176], v[64:65], s[38:39]
	v_add_f64 v[127:128], v[3:4], v[127:128]
	v_add_f64 v[203:204], v[227:228], v[203:204]
	v_fma_f64 v[37:38], v[72:73], s[14:15], -v[179:180]
	v_add_f64 v[137:138], v[137:138], v[197:198]
	v_fma_f64 v[197:198], v[76:77], s[14:15], v[181:182]
	v_fma_f64 v[179:180], v[72:73], s[14:15], v[179:180]
	v_add_f64 v[106:107], v[106:107], v[111:112]
	v_add_f64 v[86:87], v[209:210], v[86:87]
	;; [unrolled: 1-line block ×5, first 2 shown]
	v_fma_f64 v[39:40], v[43:44], s[14:15], v[185:186]
	v_add_f64 v[56:57], v[56:57], v[1:2]
	v_add_f64 v[1:2], v[165:166], v[131:132]
	;; [unrolled: 1-line block ×4, first 2 shown]
	v_mul_f64 v[169:170], v[90:91], s[34:35]
	v_add_f64 v[219:220], v[3:4], v[219:220]
	v_add_f64 v[70:71], v[35:36], v[29:30]
	v_mul_f64 v[102:103], v[51:52], s[30:31]
	v_mul_f64 v[98:99], v[78:79], s[40:41]
	;; [unrolled: 1-line block ×5, first 2 shown]
	v_fma_f64 v[167:168], v[60:61], s[0:1], -v[167:168]
	v_add_f64 v[135:136], v[3:4], v[135:136]
	v_add_f64 v[221:222], v[3:4], v[221:222]
	;; [unrolled: 1-line block ×3, first 2 shown]
	v_fma_f64 v[147:148], v[43:44], s[22:23], v[108:109]
	v_fma_f64 v[108:109], v[43:44], s[22:23], -v[108:109]
	v_fma_f64 v[227:228], v[72:73], s[20:21], -v[100:101]
	v_fma_f64 v[100:101], v[72:73], s[20:21], v[100:101]
	v_fma_f64 v[173:174], v[43:44], s[20:21], -v[173:174]
	v_add_f64 v[133:134], v[151:152], v[133:134]
	v_add_f64 v[113:114], v[141:142], v[113:114]
	;; [unrolled: 1-line block ×3, first 2 shown]
	v_mul_f64 v[177:178], v[66:67], s[38:39]
	v_mul_f64 v[191:192], v[49:50], s[34:35]
	v_add_f64 v[3:4], v[3:4], v[58:59]
	v_add_f64 v[127:128], v[231:232], v[127:128]
	;; [unrolled: 1-line block ×3, first 2 shown]
	v_fma_f64 v[123:124], v[41:42], s[0:1], -v[175:176]
	v_add_f64 v[163:164], v[239:240], v[203:204]
	v_add_f64 v[37:38], v[37:38], v[86:87]
	v_add_f64 v[86:87], v[197:198], v[88:89]
	v_add_f64 v[88:89], v[179:180], v[111:112]
	v_add_f64 v[111:112], v[25:26], v[23:24]
	v_mul_f64 v[183:184], v[64:65], s[36:37]
	v_add_f64 v[39:40], v[39:40], v[131:132]
	v_add_f64 v[131:132], v[27:28], v[21:22]
	v_fma_f64 v[58:59], v[60:61], s[24:25], v[169:170]
	v_mul_f64 v[119:120], v[64:65], s[46:47]
	v_mul_f64 v[121:122], v[66:67], s[46:47]
	v_add_f64 v[82:83], v[82:83], v[211:212]
	v_add_f64 v[219:220], v[235:236], v[219:220]
	v_fma_f64 v[62:63], v[60:61], s[24:25], -v[169:170]
	v_fma_f64 v[169:170], v[60:61], s[20:21], v[90:91]
	v_mul_f64 v[64:65], v[64:65], s[50:51]
	v_mul_f64 v[66:67], v[66:67], s[50:51]
	v_fma_f64 v[231:232], v[76:77], s[20:21], v[102:103]
	v_fma_f64 v[102:103], v[76:77], s[20:21], -v[102:103]
	v_add_f64 v[117:118], v[145:146], v[117:118]
	v_fma_f64 v[145:146], v[74:75], s[26:27], -v[98:99]
	v_fma_f64 v[98:99], v[74:75], s[26:27], v[98:99]
	v_fma_f64 v[185:186], v[43:44], s[14:15], -v[185:186]
	v_fma_f64 v[181:182], v[76:77], s[14:15], -v[181:182]
	v_add_f64 v[199:200], v[223:224], v[199:200]
	v_fma_f64 v[223:224], v[74:75], s[0:1], -v[187:188]
	v_fma_f64 v[96:97], v[70:71], s[0:1], v[189:190]
	v_fma_f64 v[187:188], v[74:75], s[0:1], v[187:188]
	v_add_f64 v[108:109], v[108:109], v[113:114]
	v_add_f64 v[113:114], v[153:154], v[135:136]
	;; [unrolled: 1-line block ×7, first 2 shown]
	v_fma_f64 v[60:61], v[60:61], s[20:21], -v[90:91]
	v_fma_f64 v[151:152], v[43:44], s[0:1], v[177:178]
	v_fma_f64 v[139:140], v[72:73], s[24:25], -v[191:192]
	v_add_f64 v[127:128], v[247:248], v[127:128]
	v_add_f64 v[137:138], v[143:144], v[137:138]
	;; [unrolled: 1-line block ×6, first 2 shown]
	v_mul_f64 v[193:194], v[51:52], s[34:35]
	v_mul_f64 v[47:48], v[49:50], s[46:47]
	;; [unrolled: 1-line block ×3, first 2 shown]
	v_fma_f64 v[211:212], v[41:42], s[14:15], -v[183:184]
	v_fma_f64 v[183:184], v[41:42], s[14:15], v[183:184]
	v_add_f64 v[94:95], v[159:160], v[94:95]
	v_add_f64 v[17:18], v[131:132], v[17:18]
	;; [unrolled: 1-line block ×3, first 2 shown]
	v_mul_f64 v[225:226], v[49:50], s[38:39]
	v_mul_f64 v[213:214], v[51:52], s[38:39]
	v_fma_f64 v[33:34], v[41:42], s[26:27], -v[119:120]
	v_fma_f64 v[35:36], v[43:44], s[26:27], v[121:122]
	v_add_f64 v[82:83], v[243:244], v[82:83]
	v_add_f64 v[58:59], v[58:59], v[219:220]
	;; [unrolled: 1-line block ×10, first 2 shown]
	v_fma_f64 v[96:97], v[41:42], s[24:25], -v[64:65]
	v_fma_f64 v[98:99], v[43:44], s[24:25], v[66:67]
	v_mul_f64 v[49:50], v[49:50], s[12:13]
	v_mul_f64 v[51:52], v[51:52], s[12:13]
	v_fma_f64 v[175:176], v[41:42], s[0:1], v[175:176]
	v_fma_f64 v[177:178], v[43:44], s[0:1], -v[177:178]
	v_add_f64 v[123:124], v[151:152], v[127:128]
	v_add_f64 v[127:128], v[227:228], v[137:138]
	v_add_f64 v[137:138], v[139:140], v[31:32]
	v_add_f64 v[25:26], v[223:224], v[37:38]
	v_add_f64 v[31:32], v[62:63], v[113:114]
	v_fma_f64 v[37:38], v[41:42], s[26:27], v[119:120]
	v_fma_f64 v[62:63], v[43:44], s[26:27], -v[121:122]
	v_add_f64 v[56:57], v[68:69], v[56:57]
	v_add_f64 v[54:55], v[60:61], v[54:55]
	v_fma_f64 v[41:42], v[41:42], s[24:25], v[64:65]
	v_fma_f64 v[43:44], v[43:44], s[24:25], -v[66:67]
	v_add_f64 v[92:93], v[161:162], v[92:93]
	v_add_f64 v[117:118], v[157:158], v[117:118]
	;; [unrolled: 1-line block ×3, first 2 shown]
	v_mul_f64 v[195:196], v[78:79], s[30:31]
	v_mul_f64 v[90:91], v[80:81], s[30:31]
	;; [unrolled: 1-line block ×3, first 2 shown]
	v_fma_f64 v[141:142], v[76:77], s[24:25], v[193:194]
	v_fma_f64 v[201:202], v[72:73], s[26:27], -v[47:48]
	v_fma_f64 v[125:126], v[76:77], s[26:27], v[45:46]
	v_add_f64 v[94:95], v[183:184], v[94:95]
	v_fma_f64 v[47:48], v[72:73], s[26:27], v[47:48]
	v_add_f64 v[13:14], v[17:18], v[13:14]
	v_mul_f64 v[104:105], v[80:81], s[40:41]
	v_mul_f64 v[205:206], v[78:79], s[50:51]
	v_add_f64 v[143:144], v[147:148], v[199:200]
	v_add_f64 v[84:85], v[211:212], v[84:85]
	;; [unrolled: 1-line block ×4, first 2 shown]
	v_fma_f64 v[58:59], v[72:73], s[0:1], -v[225:226]
	v_fma_f64 v[60:61], v[76:77], s[0:1], v[213:214]
	v_mul_f64 v[64:65], v[78:79], s[12:13]
	v_mul_f64 v[66:67], v[80:81], s[12:13]
	v_fma_f64 v[45:46], v[76:77], s[26:27], -v[45:46]
	v_add_f64 v[82:83], v[96:97], v[86:87]
	v_add_f64 v[86:87], v[98:99], v[88:89]
	v_fma_f64 v[88:89], v[72:73], s[22:23], -v[49:50]
	v_fma_f64 v[17:18], v[76:77], s[22:23], v[51:52]
	v_mul_f64 v[19:20], v[78:79], s[28:29]
	v_mul_f64 v[78:79], v[80:81], s[28:29]
	v_add_f64 v[41:42], v[41:42], v[56:57]
	v_add_f64 v[43:44], v[43:44], v[54:55]
	v_fma_f64 v[49:50], v[72:73], s[22:23], v[49:50]
	v_fma_f64 v[51:52], v[76:77], s[22:23], -v[51:52]
	v_add_f64 v[37:38], v[37:38], v[92:93]
	v_add_f64 v[31:32], v[62:63], v[31:32]
	v_fma_f64 v[62:63], v[72:73], s[0:1], v[225:226]
	v_fma_f64 v[68:69], v[76:77], s[0:1], -v[213:214]
	v_fma_f64 v[191:192], v[72:73], s[24:25], v[191:192]
	v_fma_f64 v[193:194], v[76:77], s[24:25], -v[193:194]
	v_add_f64 v[117:118], v[175:176], v[117:118]
	v_add_f64 v[106:107], v[177:178], v[1:2]
	;; [unrolled: 1-line block ×3, first 2 shown]
	v_fma_f64 v[155:156], v[74:75], s[20:21], -v[195:196]
	v_fma_f64 v[235:236], v[70:71], s[20:21], v[90:91]
	v_add_f64 v[123:124], v[141:142], v[123:124]
	v_add_f64 v[39:40], v[125:126], v[39:40]
	v_fma_f64 v[56:57], v[70:71], s[24:25], v[207:208]
	v_add_f64 v[47:48], v[47:48], v[94:95]
	v_add_f64 v[94:95], v[13:14], v[9:10]
	;; [unrolled: 3-line block ×3, first 2 shown]
	v_fma_f64 v[54:55], v[74:75], s[24:25], -v[205:206]
	v_add_f64 v[58:59], v[58:59], v[33:34]
	v_add_f64 v[60:61], v[60:61], v[35:36]
	v_fma_f64 v[80:81], v[74:75], s[22:23], -v[64:65]
	v_fma_f64 v[92:93], v[70:71], s[22:23], v[66:67]
	v_add_f64 v[45:46], v[45:46], v[108:109]
	v_fma_f64 v[72:73], v[74:75], s[24:25], v[205:206]
	v_fma_f64 v[76:77], v[70:71], s[24:25], -v[207:208]
	v_add_f64 v[82:83], v[88:89], v[82:83]
	v_add_f64 v[86:87], v[17:18], v[86:87]
	v_fma_f64 v[88:89], v[74:75], s[14:15], -v[19:20]
	v_fma_f64 v[96:97], v[70:71], s[14:15], v[78:79]
	v_fma_f64 v[195:196], v[74:75], s[20:21], v[195:196]
	;; [unrolled: 1-line block ×3, first 2 shown]
	v_add_f64 v[49:50], v[49:50], v[41:42]
	v_add_f64 v[43:44], v[51:52], v[43:44]
	v_fma_f64 v[51:52], v[74:75], s[14:15], v[19:20]
	v_fma_f64 v[74:75], v[70:71], s[14:15], -v[78:79]
	v_add_f64 v[62:63], v[62:63], v[37:38]
	v_add_f64 v[68:69], v[68:69], v[31:32]
	v_fma_f64 v[66:67], v[70:71], s[22:23], -v[66:67]
	v_fma_f64 v[104:105], v[70:71], s[26:27], -v[104:105]
	;; [unrolled: 1-line block ×3, first 2 shown]
	v_add_f64 v[117:118], v[191:192], v[117:118]
	v_add_f64 v[78:79], v[193:194], v[106:107]
	v_fma_f64 v[70:71], v[70:71], s[20:21], -v[90:91]
	v_add_f64 v[37:38], v[15:16], v[7:8]
	v_mul_u32_u24_e32 v15, 0x1556, v0
	v_add_f64 v[9:10], v[155:156], v[137:138]
	v_add_f64 v[11:12], v[235:236], v[123:124]
	;; [unrolled: 1-line block ×12, first 2 shown]
	v_lshrrev_b32_e32 v54, 16, v15
	v_add_f64 v[47:48], v[96:97], v[86:87]
	v_add_f64 v[49:50], v[51:52], v[49:50]
	;; [unrolled: 1-line block ×7, first 2 shown]
	v_mul_lo_u16 v55, v54, 12
	v_add_f64 v[31:32], v[189:190], v[133:134]
	v_add_f64 v[23:24], v[104:105], v[102:103]
	ds_write_b128 v110, v[37:40]
	ds_write_b128 v110, v[1:4] offset:208
	ds_write_b128 v110, v[25:28] offset:416
	v_sub_nc_u16 v55, v0, v55
	ds_write_b128 v110, v[9:12] offset:624
	ds_write_b128 v110, v[17:20] offset:832
	;; [unrolled: 1-line block ×8, first 2 shown]
	v_and_b32_e32 v56, 0xffff, v55
	v_mul_lo_u16 v4, 0xaa, v55
	v_mov_b32_e32 v5, 4
	v_lshlrev_b32_e32 v12, 4, v54
	s_lshl_b64 s[0:1], s[4:5], 4
	v_mad_u64_u32 v[1:2], null, s16, v56, 0
	v_lshlrev_b32_sdwa v11, v5, v4 dst_sel:DWORD dst_unused:UNUSED_PAD src0_sel:DWORD src1_sel:WORD_0
	v_mul_lo_u32 v52, s19, v54
	ds_write_b128 v110, v[29:32] offset:2288
	ds_write_b128 v110, v[21:24] offset:2496
	s_waitcnt lgkmcnt(0)
	s_barrier
	buffer_gl0_inv
	v_mad_u64_u32 v[2:3], null, s17, v56, v[2:3]
	v_add3_u32 v3, 0, v11, v12
	s_add_u32 s2, s2, s0
	s_addc_u32 s3, s3, s1
	s_lshl_b64 s[0:1], s[6:7], 4
	v_lshlrev_b64 v[7:8], 4, v[52:53]
	ds_read_b128 v[3:6], v3
	v_lshlrev_b64 v[1:2], 4, v[1:2]
	s_add_u32 s2, s2, s0
	s_addc_u32 s3, s3, s1
	s_lshl_b64 s[0:1], s[10:11], 4
	s_mul_i32 s19, s19, 13
	s_add_u32 s0, s2, s0
	s_addc_u32 s1, s3, s1
	v_add_co_u32 v1, vcc_lo, s0, v1
	v_add_co_ci_u32_e32 v2, vcc_lo, s1, v2, vcc_lo
	v_add_nc_u32_e32 v52, s19, v52
	v_add_co_u32 v7, vcc_lo, v1, v7
	v_add_co_ci_u32_e32 v8, vcc_lo, v2, v8, vcc_lo
	v_lshlrev_b64 v[9:10], 4, v[52:53]
	v_add_nc_u32_e32 v52, s19, v52
	s_mov_b32 s0, exec_lo
	s_waitcnt lgkmcnt(0)
	global_store_dwordx4 v[7:8], v[3:6], off
	v_add3_u32 v3, 0, v12, v11
	v_add_co_u32 v22, vcc_lo, v1, v9
	v_lshlrev_b64 v[20:21], 4, v[52:53]
	v_add_nc_u32_e32 v52, s19, v52
	v_add_co_ci_u32_e32 v23, vcc_lo, v2, v10, vcc_lo
	ds_read_b128 v[4:7], v3 offset:208
	ds_read_b128 v[8:11], v3 offset:416
	;; [unrolled: 1-line block ×4, first 2 shown]
	v_lshlrev_b64 v[24:25], 4, v[52:53]
	v_add_nc_u32_e32 v52, s19, v52
	v_add_co_u32 v20, vcc_lo, v1, v20
	v_add_co_ci_u32_e32 v21, vcc_lo, v2, v21, vcc_lo
	v_lshlrev_b64 v[26:27], 4, v[52:53]
	v_add_co_u32 v24, vcc_lo, v1, v24
	v_add_co_ci_u32_e32 v25, vcc_lo, v2, v25, vcc_lo
	v_add_nc_u32_e32 v52, s19, v52
	v_add_co_u32 v26, vcc_lo, v1, v26
	v_add_co_ci_u32_e32 v27, vcc_lo, v2, v27, vcc_lo
	v_lshlrev_b64 v[28:29], 4, v[52:53]
	v_add_nc_u32_e32 v52, s19, v52
	s_waitcnt lgkmcnt(3)
	global_store_dwordx4 v[22:23], v[4:7], off
	s_waitcnt lgkmcnt(2)
	global_store_dwordx4 v[20:21], v[8:11], off
	;; [unrolled: 2-line block ×4, first 2 shown]
	ds_read_b128 v[4:7], v3 offset:1040
	ds_read_b128 v[8:11], v3 offset:1248
	ds_read_b128 v[12:15], v3 offset:1456
	ds_read_b128 v[16:19], v3 offset:1664
	v_lshlrev_b64 v[20:21], 4, v[52:53]
	v_add_nc_u32_e32 v52, s19, v52
	v_add_co_u32 v22, vcc_lo, v1, v28
	v_add_co_ci_u32_e32 v23, vcc_lo, v2, v29, vcc_lo
	v_lshlrev_b64 v[24:25], 4, v[52:53]
	v_add_nc_u32_e32 v52, s19, v52
	v_add_co_u32 v20, vcc_lo, v1, v20
	v_add_co_ci_u32_e32 v21, vcc_lo, v2, v21, vcc_lo
	v_lshlrev_b64 v[26:27], 4, v[52:53]
	v_add_nc_u32_e32 v52, s19, v52
	v_add_co_u32 v24, vcc_lo, v1, v24
	v_add_co_ci_u32_e32 v25, vcc_lo, v2, v25, vcc_lo
	s_waitcnt lgkmcnt(3)
	global_store_dwordx4 v[22:23], v[4:7], off
	v_lshlrev_b64 v[4:5], 4, v[52:53]
	v_add_co_u32 v26, vcc_lo, v1, v26
	v_add_co_ci_u32_e32 v27, vcc_lo, v2, v27, vcc_lo
	v_add_nc_u32_e32 v52, s19, v52
	s_waitcnt lgkmcnt(2)
	global_store_dwordx4 v[20:21], v[8:11], off
	s_waitcnt lgkmcnt(1)
	global_store_dwordx4 v[24:25], v[12:15], off
	;; [unrolled: 2-line block ×3, first 2 shown]
	v_add_co_u32 v20, vcc_lo, v1, v4
	v_add_co_ci_u32_e32 v21, vcc_lo, v2, v5, vcc_lo
	v_lshlrev_b64 v[22:23], 4, v[52:53]
	v_add_nc_u32_e32 v52, s19, v52
	ds_read_b128 v[4:7], v3 offset:1872
	ds_read_b128 v[8:11], v3 offset:2080
	ds_read_b128 v[12:15], v3 offset:2288
	ds_read_b128 v[16:19], v3 offset:2496
	v_lshlrev_b64 v[24:25], 4, v[52:53]
	v_add_nc_u32_e32 v52, s19, v52
	v_add_co_u32 v22, vcc_lo, v1, v22
	v_add_co_ci_u32_e32 v23, vcc_lo, v2, v23, vcc_lo
	v_lshlrev_b64 v[26:27], 4, v[52:53]
	v_add_co_u32 v24, vcc_lo, v1, v24
	v_add_co_ci_u32_e32 v25, vcc_lo, v2, v25, vcc_lo
	v_add_co_u32 v26, vcc_lo, v1, v26
	v_add_co_ci_u32_e32 v27, vcc_lo, v2, v27, vcc_lo
	s_waitcnt lgkmcnt(3)
	global_store_dwordx4 v[20:21], v[4:7], off
	s_waitcnt lgkmcnt(2)
	global_store_dwordx4 v[22:23], v[8:11], off
	;; [unrolled: 2-line block ×4, first 2 shown]
	v_cmpx_gt_u32_e32 12, v0
	s_cbranch_execz .LBB0_2
; %bb.1:
	ds_read_b128 v[3:6], v3 offset:2704
	v_add_nc_u32_e32 v52, s19, v52
	v_lshlrev_b64 v[7:8], 4, v[52:53]
	v_add_co_u32 v0, vcc_lo, v1, v7
	v_add_co_ci_u32_e32 v1, vcc_lo, v2, v8, vcc_lo
	s_waitcnt lgkmcnt(0)
	global_store_dwordx4 v[0:1], v[3:6], off
.LBB0_2:
	s_endpgm
	.section	.rodata,"a",@progbits
	.p2align	6, 0x0
	.amdhsa_kernel fft_rtc_fwd_len169_factors_13_13_wgs_156_tpt_13_dp_op_CI_CI_sbrc_erc_z_xy_aligned
		.amdhsa_group_segment_fixed_size 0
		.amdhsa_private_segment_fixed_size 0
		.amdhsa_kernarg_size 104
		.amdhsa_user_sgpr_count 6
		.amdhsa_user_sgpr_private_segment_buffer 1
		.amdhsa_user_sgpr_dispatch_ptr 0
		.amdhsa_user_sgpr_queue_ptr 0
		.amdhsa_user_sgpr_kernarg_segment_ptr 1
		.amdhsa_user_sgpr_dispatch_id 0
		.amdhsa_user_sgpr_flat_scratch_init 0
		.amdhsa_user_sgpr_private_segment_size 0
		.amdhsa_wavefront_size32 1
		.amdhsa_uses_dynamic_stack 0
		.amdhsa_system_sgpr_private_segment_wavefront_offset 0
		.amdhsa_system_sgpr_workgroup_id_x 1
		.amdhsa_system_sgpr_workgroup_id_y 0
		.amdhsa_system_sgpr_workgroup_id_z 0
		.amdhsa_system_sgpr_workgroup_info 0
		.amdhsa_system_vgpr_workitem_id 0
		.amdhsa_next_free_vgpr 251
		.amdhsa_next_free_sgpr 53
		.amdhsa_reserve_vcc 1
		.amdhsa_reserve_flat_scratch 0
		.amdhsa_float_round_mode_32 0
		.amdhsa_float_round_mode_16_64 0
		.amdhsa_float_denorm_mode_32 3
		.amdhsa_float_denorm_mode_16_64 3
		.amdhsa_dx10_clamp 1
		.amdhsa_ieee_mode 1
		.amdhsa_fp16_overflow 0
		.amdhsa_workgroup_processor_mode 1
		.amdhsa_memory_ordered 1
		.amdhsa_forward_progress 0
		.amdhsa_shared_vgpr_count 0
		.amdhsa_exception_fp_ieee_invalid_op 0
		.amdhsa_exception_fp_denorm_src 0
		.amdhsa_exception_fp_ieee_div_zero 0
		.amdhsa_exception_fp_ieee_overflow 0
		.amdhsa_exception_fp_ieee_underflow 0
		.amdhsa_exception_fp_ieee_inexact 0
		.amdhsa_exception_int_div_zero 0
	.end_amdhsa_kernel
	.text
.Lfunc_end0:
	.size	fft_rtc_fwd_len169_factors_13_13_wgs_156_tpt_13_dp_op_CI_CI_sbrc_erc_z_xy_aligned, .Lfunc_end0-fft_rtc_fwd_len169_factors_13_13_wgs_156_tpt_13_dp_op_CI_CI_sbrc_erc_z_xy_aligned
                                        ; -- End function
	.section	.AMDGPU.csdata,"",@progbits
; Kernel info:
; codeLenInByte = 11256
; NumSgprs: 55
; NumVgprs: 251
; ScratchSize: 0
; MemoryBound: 0
; FloatMode: 240
; IeeeMode: 1
; LDSByteSize: 0 bytes/workgroup (compile time only)
; SGPRBlocks: 6
; VGPRBlocks: 31
; NumSGPRsForWavesPerEU: 55
; NumVGPRsForWavesPerEU: 251
; Occupancy: 4
; WaveLimiterHint : 1
; COMPUTE_PGM_RSRC2:SCRATCH_EN: 0
; COMPUTE_PGM_RSRC2:USER_SGPR: 6
; COMPUTE_PGM_RSRC2:TRAP_HANDLER: 0
; COMPUTE_PGM_RSRC2:TGID_X_EN: 1
; COMPUTE_PGM_RSRC2:TGID_Y_EN: 0
; COMPUTE_PGM_RSRC2:TGID_Z_EN: 0
; COMPUTE_PGM_RSRC2:TIDIG_COMP_CNT: 0
	.text
	.p2alignl 6, 3214868480
	.fill 48, 4, 3214868480
	.type	__hip_cuid_72de6af3bb459c5b,@object ; @__hip_cuid_72de6af3bb459c5b
	.section	.bss,"aw",@nobits
	.globl	__hip_cuid_72de6af3bb459c5b
__hip_cuid_72de6af3bb459c5b:
	.byte	0                               ; 0x0
	.size	__hip_cuid_72de6af3bb459c5b, 1

	.ident	"AMD clang version 19.0.0git (https://github.com/RadeonOpenCompute/llvm-project roc-6.4.0 25133 c7fe45cf4b819c5991fe208aaa96edf142730f1d)"
	.section	".note.GNU-stack","",@progbits
	.addrsig
	.addrsig_sym __hip_cuid_72de6af3bb459c5b
	.amdgpu_metadata
---
amdhsa.kernels:
  - .args:
      - .actual_access:  read_only
        .address_space:  global
        .offset:         0
        .size:           8
        .value_kind:     global_buffer
      - .offset:         8
        .size:           8
        .value_kind:     by_value
      - .actual_access:  read_only
        .address_space:  global
        .offset:         16
        .size:           8
        .value_kind:     global_buffer
      - .actual_access:  read_only
        .address_space:  global
        .offset:         24
        .size:           8
        .value_kind:     global_buffer
      - .actual_access:  read_only
        .address_space:  global
        .offset:         32
        .size:           8
        .value_kind:     global_buffer
      - .offset:         40
        .size:           8
        .value_kind:     by_value
      - .actual_access:  read_only
        .address_space:  global
        .offset:         48
        .size:           8
        .value_kind:     global_buffer
      - .actual_access:  read_only
        .address_space:  global
        .offset:         56
        .size:           8
        .value_kind:     global_buffer
      - .offset:         64
        .size:           4
        .value_kind:     by_value
      - .actual_access:  read_only
        .address_space:  global
        .offset:         72
        .size:           8
        .value_kind:     global_buffer
      - .actual_access:  read_only
        .address_space:  global
        .offset:         80
        .size:           8
        .value_kind:     global_buffer
      - .actual_access:  read_only
        .address_space:  global
        .offset:         88
        .size:           8
        .value_kind:     global_buffer
      - .actual_access:  write_only
        .address_space:  global
        .offset:         96
        .size:           8
        .value_kind:     global_buffer
    .group_segment_fixed_size: 0
    .kernarg_segment_align: 8
    .kernarg_segment_size: 104
    .language:       OpenCL C
    .language_version:
      - 2
      - 0
    .max_flat_workgroup_size: 156
    .name:           fft_rtc_fwd_len169_factors_13_13_wgs_156_tpt_13_dp_op_CI_CI_sbrc_erc_z_xy_aligned
    .private_segment_fixed_size: 0
    .sgpr_count:     55
    .sgpr_spill_count: 0
    .symbol:         fft_rtc_fwd_len169_factors_13_13_wgs_156_tpt_13_dp_op_CI_CI_sbrc_erc_z_xy_aligned.kd
    .uniform_work_group_size: 1
    .uses_dynamic_stack: false
    .vgpr_count:     251
    .vgpr_spill_count: 0
    .wavefront_size: 32
    .workgroup_processor_mode: 1
amdhsa.target:   amdgcn-amd-amdhsa--gfx1030
amdhsa.version:
  - 1
  - 2
...

	.end_amdgpu_metadata
